;; amdgpu-corpus repo=ROCm/rocFFT kind=compiled arch=gfx906 opt=O3
	.text
	.amdgcn_target "amdgcn-amd-amdhsa--gfx906"
	.amdhsa_code_object_version 6
	.protected	fft_rtc_fwd_len880_factors_2_2_2_2_11_5_wgs_176_tpt_88_halfLds_dp_op_CI_CI_unitstride_sbrr_R2C_dirReg ; -- Begin function fft_rtc_fwd_len880_factors_2_2_2_2_11_5_wgs_176_tpt_88_halfLds_dp_op_CI_CI_unitstride_sbrr_R2C_dirReg
	.globl	fft_rtc_fwd_len880_factors_2_2_2_2_11_5_wgs_176_tpt_88_halfLds_dp_op_CI_CI_unitstride_sbrr_R2C_dirReg
	.p2align	8
	.type	fft_rtc_fwd_len880_factors_2_2_2_2_11_5_wgs_176_tpt_88_halfLds_dp_op_CI_CI_unitstride_sbrr_R2C_dirReg,@function
fft_rtc_fwd_len880_factors_2_2_2_2_11_5_wgs_176_tpt_88_halfLds_dp_op_CI_CI_unitstride_sbrr_R2C_dirReg: ; @fft_rtc_fwd_len880_factors_2_2_2_2_11_5_wgs_176_tpt_88_halfLds_dp_op_CI_CI_unitstride_sbrr_R2C_dirReg
; %bb.0:
	s_load_dwordx4 s[8:11], s[4:5], 0x58
	s_load_dwordx4 s[12:15], s[4:5], 0x0
	;; [unrolled: 1-line block ×3, first 2 shown]
	v_mul_u32_u24_e32 v1, 0x2e9, v0
	v_lshrrev_b32_e32 v7, 16, v1
	v_mov_b32_e32 v3, 0
	s_waitcnt lgkmcnt(0)
	v_cmp_lt_u64_e64 s[0:1], s[14:15], 2
	v_mov_b32_e32 v1, 0
	v_lshl_add_u32 v5, s6, 1, v7
	v_mov_b32_e32 v6, v3
	s_and_b64 vcc, exec, s[0:1]
	v_mov_b32_e32 v2, 0
	s_cbranch_vccnz .LBB0_8
; %bb.1:
	s_load_dwordx2 s[0:1], s[4:5], 0x10
	s_add_u32 s2, s18, 8
	s_addc_u32 s3, s19, 0
	s_add_u32 s6, s16, 8
	v_mov_b32_e32 v1, 0
	s_addc_u32 s7, s17, 0
	v_mov_b32_e32 v2, 0
	s_waitcnt lgkmcnt(0)
	s_add_u32 s20, s0, 8
	v_mov_b32_e32 v45, v2
	s_addc_u32 s21, s1, 0
	s_mov_b64 s[22:23], 1
	v_mov_b32_e32 v44, v1
.LBB0_2:                                ; =>This Inner Loop Header: Depth=1
	s_load_dwordx2 s[24:25], s[20:21], 0x0
                                        ; implicit-def: $vgpr46_vgpr47
	s_waitcnt lgkmcnt(0)
	v_or_b32_e32 v4, s25, v6
	v_cmp_ne_u64_e32 vcc, 0, v[3:4]
	s_and_saveexec_b64 s[0:1], vcc
	s_xor_b64 s[26:27], exec, s[0:1]
	s_cbranch_execz .LBB0_4
; %bb.3:                                ;   in Loop: Header=BB0_2 Depth=1
	v_cvt_f32_u32_e32 v4, s24
	v_cvt_f32_u32_e32 v8, s25
	s_sub_u32 s0, 0, s24
	s_subb_u32 s1, 0, s25
	v_mac_f32_e32 v4, 0x4f800000, v8
	v_rcp_f32_e32 v4, v4
	v_mul_f32_e32 v4, 0x5f7ffffc, v4
	v_mul_f32_e32 v8, 0x2f800000, v4
	v_trunc_f32_e32 v8, v8
	v_mac_f32_e32 v4, 0xcf800000, v8
	v_cvt_u32_f32_e32 v8, v8
	v_cvt_u32_f32_e32 v4, v4
	v_mul_lo_u32 v9, s0, v8
	v_mul_hi_u32 v10, s0, v4
	v_mul_lo_u32 v12, s1, v4
	v_mul_lo_u32 v11, s0, v4
	v_add_u32_e32 v9, v10, v9
	v_add_u32_e32 v9, v9, v12
	v_mul_hi_u32 v10, v4, v11
	v_mul_lo_u32 v12, v4, v9
	v_mul_hi_u32 v14, v4, v9
	v_mul_hi_u32 v13, v8, v11
	v_mul_lo_u32 v11, v8, v11
	v_mul_hi_u32 v15, v8, v9
	v_add_co_u32_e32 v10, vcc, v10, v12
	v_addc_co_u32_e32 v12, vcc, 0, v14, vcc
	v_mul_lo_u32 v9, v8, v9
	v_add_co_u32_e32 v10, vcc, v10, v11
	v_addc_co_u32_e32 v10, vcc, v12, v13, vcc
	v_addc_co_u32_e32 v11, vcc, 0, v15, vcc
	v_add_co_u32_e32 v9, vcc, v10, v9
	v_addc_co_u32_e32 v10, vcc, 0, v11, vcc
	v_add_co_u32_e32 v4, vcc, v4, v9
	v_addc_co_u32_e32 v8, vcc, v8, v10, vcc
	v_mul_lo_u32 v9, s0, v8
	v_mul_hi_u32 v10, s0, v4
	v_mul_lo_u32 v11, s1, v4
	v_mul_lo_u32 v12, s0, v4
	v_add_u32_e32 v9, v10, v9
	v_add_u32_e32 v9, v9, v11
	v_mul_lo_u32 v13, v4, v9
	v_mul_hi_u32 v14, v4, v12
	v_mul_hi_u32 v15, v4, v9
	;; [unrolled: 1-line block ×3, first 2 shown]
	v_mul_lo_u32 v12, v8, v12
	v_mul_hi_u32 v10, v8, v9
	v_add_co_u32_e32 v13, vcc, v14, v13
	v_addc_co_u32_e32 v14, vcc, 0, v15, vcc
	v_mul_lo_u32 v9, v8, v9
	v_add_co_u32_e32 v12, vcc, v13, v12
	v_addc_co_u32_e32 v11, vcc, v14, v11, vcc
	v_addc_co_u32_e32 v10, vcc, 0, v10, vcc
	v_add_co_u32_e32 v9, vcc, v11, v9
	v_addc_co_u32_e32 v10, vcc, 0, v10, vcc
	v_add_co_u32_e32 v4, vcc, v4, v9
	v_addc_co_u32_e32 v10, vcc, v8, v10, vcc
	v_mad_u64_u32 v[8:9], s[0:1], v5, v10, 0
	v_mul_hi_u32 v11, v5, v4
	v_add_co_u32_e32 v12, vcc, v11, v8
	v_addc_co_u32_e32 v13, vcc, 0, v9, vcc
	v_mad_u64_u32 v[8:9], s[0:1], v6, v4, 0
	v_mad_u64_u32 v[10:11], s[0:1], v6, v10, 0
	v_add_co_u32_e32 v4, vcc, v12, v8
	v_addc_co_u32_e32 v4, vcc, v13, v9, vcc
	v_addc_co_u32_e32 v8, vcc, 0, v11, vcc
	v_add_co_u32_e32 v4, vcc, v4, v10
	v_addc_co_u32_e32 v10, vcc, 0, v8, vcc
	v_mul_lo_u32 v11, s25, v4
	v_mul_lo_u32 v12, s24, v10
	v_mad_u64_u32 v[8:9], s[0:1], s24, v4, 0
	v_add3_u32 v9, v9, v12, v11
	v_sub_u32_e32 v11, v6, v9
	v_mov_b32_e32 v12, s25
	v_sub_co_u32_e32 v8, vcc, v5, v8
	v_subb_co_u32_e64 v11, s[0:1], v11, v12, vcc
	v_subrev_co_u32_e64 v12, s[0:1], s24, v8
	v_subbrev_co_u32_e64 v11, s[0:1], 0, v11, s[0:1]
	v_cmp_le_u32_e64 s[0:1], s25, v11
	v_cndmask_b32_e64 v13, 0, -1, s[0:1]
	v_cmp_le_u32_e64 s[0:1], s24, v12
	v_cndmask_b32_e64 v12, 0, -1, s[0:1]
	v_cmp_eq_u32_e64 s[0:1], s25, v11
	v_cndmask_b32_e64 v11, v13, v12, s[0:1]
	v_add_co_u32_e64 v12, s[0:1], 2, v4
	v_addc_co_u32_e64 v13, s[0:1], 0, v10, s[0:1]
	v_add_co_u32_e64 v14, s[0:1], 1, v4
	v_addc_co_u32_e64 v15, s[0:1], 0, v10, s[0:1]
	v_subb_co_u32_e32 v9, vcc, v6, v9, vcc
	v_cmp_ne_u32_e64 s[0:1], 0, v11
	v_cmp_le_u32_e32 vcc, s25, v9
	v_cndmask_b32_e64 v11, v15, v13, s[0:1]
	v_cndmask_b32_e64 v13, 0, -1, vcc
	v_cmp_le_u32_e32 vcc, s24, v8
	v_cndmask_b32_e64 v8, 0, -1, vcc
	v_cmp_eq_u32_e32 vcc, s25, v9
	v_cndmask_b32_e32 v8, v13, v8, vcc
	v_cmp_ne_u32_e32 vcc, 0, v8
	v_cndmask_b32_e64 v8, v14, v12, s[0:1]
	v_cndmask_b32_e32 v47, v10, v11, vcc
	v_cndmask_b32_e32 v46, v4, v8, vcc
.LBB0_4:                                ;   in Loop: Header=BB0_2 Depth=1
	s_andn2_saveexec_b64 s[0:1], s[26:27]
	s_cbranch_execz .LBB0_6
; %bb.5:                                ;   in Loop: Header=BB0_2 Depth=1
	v_cvt_f32_u32_e32 v4, s24
	s_sub_i32 s26, 0, s24
	v_mov_b32_e32 v47, v3
	v_rcp_iflag_f32_e32 v4, v4
	v_mul_f32_e32 v4, 0x4f7ffffe, v4
	v_cvt_u32_f32_e32 v4, v4
	v_mul_lo_u32 v8, s26, v4
	v_mul_hi_u32 v8, v4, v8
	v_add_u32_e32 v4, v4, v8
	v_mul_hi_u32 v4, v5, v4
	v_mul_lo_u32 v8, v4, s24
	v_add_u32_e32 v9, 1, v4
	v_sub_u32_e32 v8, v5, v8
	v_subrev_u32_e32 v10, s24, v8
	v_cmp_le_u32_e32 vcc, s24, v8
	v_cndmask_b32_e32 v8, v8, v10, vcc
	v_cndmask_b32_e32 v4, v4, v9, vcc
	v_add_u32_e32 v9, 1, v4
	v_cmp_le_u32_e32 vcc, s24, v8
	v_cndmask_b32_e32 v46, v4, v9, vcc
.LBB0_6:                                ;   in Loop: Header=BB0_2 Depth=1
	s_or_b64 exec, exec, s[0:1]
	v_mul_lo_u32 v4, v47, s24
	v_mul_lo_u32 v10, v46, s25
	v_mad_u64_u32 v[8:9], s[0:1], v46, s24, 0
	s_load_dwordx2 s[0:1], s[6:7], 0x0
	s_load_dwordx2 s[24:25], s[2:3], 0x0
	v_add3_u32 v4, v9, v10, v4
	v_sub_co_u32_e32 v5, vcc, v5, v8
	v_subb_co_u32_e32 v4, vcc, v6, v4, vcc
	s_waitcnt lgkmcnt(0)
	v_mul_lo_u32 v6, s0, v4
	v_mul_lo_u32 v8, s1, v5
	v_mad_u64_u32 v[1:2], s[0:1], s0, v5, v[1:2]
	v_mul_lo_u32 v4, s24, v4
	v_mul_lo_u32 v9, s25, v5
	v_mad_u64_u32 v[44:45], s[0:1], s24, v5, v[44:45]
	s_add_u32 s22, s22, 1
	s_addc_u32 s23, s23, 0
	s_add_u32 s2, s2, 8
	v_add3_u32 v45, v9, v45, v4
	s_addc_u32 s3, s3, 0
	v_mov_b32_e32 v4, s14
	s_add_u32 s6, s6, 8
	v_mov_b32_e32 v5, s15
	s_addc_u32 s7, s7, 0
	v_cmp_ge_u64_e32 vcc, s[22:23], v[4:5]
	s_add_u32 s20, s20, 8
	v_add3_u32 v2, v8, v2, v6
	s_addc_u32 s21, s21, 0
	s_cbranch_vccnz .LBB0_9
; %bb.7:                                ;   in Loop: Header=BB0_2 Depth=1
	v_mov_b32_e32 v5, v46
	v_mov_b32_e32 v6, v47
	s_branch .LBB0_2
.LBB0_8:
	v_mov_b32_e32 v45, v2
	v_mov_b32_e32 v47, v6
	;; [unrolled: 1-line block ×4, first 2 shown]
.LBB0_9:
	s_load_dwordx2 s[2:3], s[4:5], 0x28
	s_lshl_b64 s[6:7], s[14:15], 3
	s_add_u32 s4, s18, s6
	v_and_b32_e32 v3, 1, v7
	s_addc_u32 s5, s19, s7
	s_waitcnt lgkmcnt(0)
	v_cmp_gt_u64_e64 s[0:1], s[2:3], v[46:47]
	v_cmp_le_u64_e64 s[2:3], s[2:3], v[46:47]
	v_cmp_eq_u32_e32 vcc, 1, v3
	v_mov_b32_e32 v3, 0x371
                                        ; implicit-def: $vgpr48
                                        ; implicit-def: $vgpr50
                                        ; implicit-def: $vgpr56
                                        ; implicit-def: $vgpr54
                                        ; implicit-def: $vgpr52
	s_and_saveexec_b64 s[14:15], s[2:3]
	s_xor_b64 s[2:3], exec, s[14:15]
; %bb.10:
	s_mov_b32 s14, 0x2e8ba2f
	v_mul_hi_u32 v1, v0, s14
	v_mul_u32_u24_e32 v1, 0x58, v1
	v_sub_u32_e32 v48, v0, v1
	v_add_u32_e32 v50, 0x58, v48
	v_add_u32_e32 v56, 0xb0, v48
	;; [unrolled: 1-line block ×4, first 2 shown]
                                        ; implicit-def: $vgpr0
                                        ; implicit-def: $vgpr1_vgpr2
; %bb.11:
	s_or_saveexec_b64 s[2:3], s[2:3]
	v_cndmask_b32_e32 v3, 0, v3, vcc
	v_lshlrev_b32_e32 v106, 4, v3
	s_xor_b64 exec, exec, s[2:3]
	s_cbranch_execz .LBB0_13
; %bb.12:
	s_add_u32 s6, s16, s6
	s_addc_u32 s7, s17, s7
	s_load_dwordx2 s[6:7], s[6:7], 0x0
	s_mov_b32 s14, 0x2e8ba2f
	v_mul_hi_u32 v5, v0, s14
	s_waitcnt lgkmcnt(0)
	v_mul_lo_u32 v6, s7, v46
	v_mul_lo_u32 v7, s6, v47
	v_mad_u64_u32 v[3:4], s[6:7], s6, v46, 0
	v_mul_u32_u24_e32 v5, 0x58, v5
	v_sub_u32_e32 v48, v0, v5
	v_add3_u32 v4, v4, v7, v6
	v_lshlrev_b64 v[3:4], 4, v[3:4]
	v_mov_b32_e32 v0, s9
	v_add_co_u32_e32 v3, vcc, s8, v3
	v_addc_co_u32_e32 v4, vcc, v0, v4, vcc
	v_lshlrev_b64 v[0:1], 4, v[1:2]
	v_lshlrev_b32_e32 v41, 4, v48
	v_add_co_u32_e32 v0, vcc, v3, v0
	v_addc_co_u32_e32 v1, vcc, v4, v1, vcc
	v_add_co_u32_e32 v35, vcc, v0, v41
	v_addc_co_u32_e32 v36, vcc, 0, v1, vcc
	s_movk_i32 s6, 0x1000
	v_add_co_u32_e32 v24, vcc, s6, v35
	v_addc_co_u32_e32 v25, vcc, 0, v36, vcc
	v_add_co_u32_e32 v37, vcc, 0x2000, v35
	v_addc_co_u32_e32 v38, vcc, 0, v36, vcc
	;; [unrolled: 2-line block ×3, first 2 shown]
	global_load_dwordx4 v[0:3], v[35:36], off
	global_load_dwordx4 v[4:7], v[35:36], off offset:1408
	global_load_dwordx4 v[8:11], v[35:36], off offset:2816
	;; [unrolled: 1-line block ×5, first 2 shown]
	s_nop 0
	global_load_dwordx4 v[24:27], v[37:38], off offset:256
	global_load_dwordx4 v[28:31], v[37:38], off offset:1664
	global_load_dwordx4 v[32:35], v[37:38], off offset:3072
	v_add_u32_e32 v50, 0x58, v48
	global_load_dwordx4 v[36:39], v[39:40], off offset:384
	v_add_u32_e32 v56, 0xb0, v48
	v_add_u32_e32 v54, 0x108, v48
	v_add3_u32 v40, 0, v106, v41
	v_add_u32_e32 v52, 0x160, v48
	s_waitcnt vmcnt(9)
	ds_write_b128 v40, v[0:3]
	s_waitcnt vmcnt(8)
	ds_write_b128 v40, v[4:7] offset:1408
	s_waitcnt vmcnt(7)
	ds_write_b128 v40, v[8:11] offset:2816
	;; [unrolled: 2-line block ×9, first 2 shown]
.LBB0_13:
	s_or_b64 exec, exec, s[2:3]
	v_lshlrev_b32_e32 v49, 4, v48
	v_add_u32_e32 v105, 0, v106
	v_add3_u32 v51, 0, v49, v106
	s_load_dwordx2 s[2:3], s[4:5], 0x0
	s_waitcnt lgkmcnt(0)
	s_barrier
	v_add_u32_e32 v53, v105, v49
	ds_read_b128 v[0:3], v51 offset:7040
	ds_read_b128 v[4:7], v53
	ds_read_b128 v[8:11], v51 offset:1408
	ds_read_b128 v[12:15], v51 offset:5632
	;; [unrolled: 1-line block ×8, first 2 shown]
	v_add_u32_e32 v40, v51, v49
	s_waitcnt lgkmcnt(8)
	v_add_f64 v[0:1], v[4:5], -v[0:1]
	v_add_f64 v[2:3], v[6:7], -v[2:3]
	s_waitcnt lgkmcnt(0)
	s_barrier
	v_and_b32_e32 v43, 1, v48
	s_movk_i32 s4, 0xfc
	s_movk_i32 s5, 0x1fc
	v_fma_f64 v[4:5], v[4:5], 2.0, -v[0:1]
	v_fma_f64 v[6:7], v[6:7], 2.0, -v[2:3]
	ds_write_b128 v40, v[4:7]
	ds_write_b128 v40, v[0:3] offset:16
	v_add_f64 v[0:1], v[8:9], -v[16:17]
	v_add_f64 v[2:3], v[10:11], -v[18:19]
	;; [unrolled: 1-line block ×8, first 2 shown]
	v_fma_f64 v[8:9], v[8:9], 2.0, -v[0:1]
	v_fma_f64 v[10:11], v[10:11], 2.0, -v[2:3]
	;; [unrolled: 1-line block ×8, first 2 shown]
	v_lshl_add_u32 v32, v50, 5, v105
	ds_write_b128 v32, v[8:11]
	ds_write_b128 v32, v[0:3] offset:16
	v_lshl_add_u32 v8, v56, 5, v105
	ds_write_b128 v8, v[24:27]
	ds_write_b128 v8, v[4:7] offset:16
	v_lshl_add_u32 v7, v54, 5, v105
	v_lshl_add_u32 v9, v52, 5, v105
	v_lshlrev_b32_e32 v0, 4, v43
	ds_write_b128 v7, v[28:31]
	ds_write_b128 v7, v[16:19] offset:16
	ds_write_b128 v9, v[12:15]
	ds_write_b128 v9, v[20:23] offset:16
	s_waitcnt lgkmcnt(0)
	s_barrier
	global_load_dwordx4 v[3:6], v0, s[12:13]
	v_lshlrev_b32_e32 v0, 1, v48
	v_lshlrev_b32_e32 v1, 1, v50
	s_movk_i32 s6, 0x3fc
	v_lshlrev_b32_e32 v2, 1, v56
	v_lshlrev_b32_e32 v10, 4, v50
	;; [unrolled: 1-line block ×5, first 2 shown]
	v_and_or_b32 v14, v0, s4, v43
	v_and_or_b32 v15, v1, s5, v43
	;; [unrolled: 1-line block ×3, first 2 shown]
	v_sub_u32_e32 v55, v32, v10
	v_sub_u32_e32 v108, v8, v11
	;; [unrolled: 1-line block ×4, first 2 shown]
	v_lshl_add_u32 v79, v14, 4, v105
	v_lshl_add_u32 v80, v15, 4, v105
	;; [unrolled: 1-line block ×3, first 2 shown]
	ds_read_b128 v[7:10], v51 offset:8448
	ds_read_b128 v[11:14], v51 offset:9856
	;; [unrolled: 1-line block ×5, first 2 shown]
	ds_read_b128 v[27:30], v53
	ds_read_b128 v[31:34], v55
	ds_read_b128 v[35:38], v108
	ds_read_b128 v[39:42], v107
	ds_read_b128 v[57:60], v109
	s_waitcnt vmcnt(0) lgkmcnt(0)
	s_barrier
	s_movk_i32 s4, 0xf8
	s_movk_i32 s5, 0x1f8
	;; [unrolled: 1-line block ×3, first 2 shown]
	v_cmp_gt_u32_e32 vcc, s7, v48
	v_mul_f64 v[61:62], v[25:26], v[5:6]
	v_mul_f64 v[63:64], v[23:24], v[5:6]
	;; [unrolled: 1-line block ×10, first 2 shown]
	v_fma_f64 v[23:24], v[23:24], v[3:4], -v[61:62]
	v_fma_f64 v[25:26], v[25:26], v[3:4], v[63:64]
	v_fma_f64 v[7:8], v[7:8], v[3:4], -v[65:66]
	v_fma_f64 v[9:10], v[9:10], v[3:4], v[67:68]
	v_fma_f64 v[11:12], v[11:12], v[3:4], -v[69:70]
	v_fma_f64 v[13:14], v[13:14], v[3:4], v[71:72]
	v_fma_f64 v[15:16], v[15:16], v[3:4], -v[73:74]
	v_fma_f64 v[17:18], v[17:18], v[3:4], v[75:76]
	v_fma_f64 v[61:62], v[19:20], v[3:4], -v[77:78]
	v_fma_f64 v[63:64], v[21:22], v[3:4], v[5:6]
	v_add_f64 v[3:4], v[27:28], -v[23:24]
	v_add_f64 v[5:6], v[29:30], -v[25:26]
	;; [unrolled: 1-line block ×8, first 2 shown]
	v_fma_f64 v[19:20], v[27:28], 2.0, -v[3:4]
	v_fma_f64 v[21:22], v[29:30], 2.0, -v[5:6]
	;; [unrolled: 1-line block ×4, first 2 shown]
	v_add_f64 v[27:28], v[57:58], -v[61:62]
	v_fma_f64 v[31:32], v[35:36], 2.0, -v[11:12]
	v_fma_f64 v[33:34], v[37:38], 2.0, -v[13:14]
	v_add_f64 v[29:30], v[59:60], -v[63:64]
	ds_write_b128 v79, v[3:6] offset:32
	v_fma_f64 v[4:5], v[39:40], 2.0, -v[15:16]
	ds_write_b128 v79, v[19:22]
	ds_write_b128 v80, v[23:26]
	ds_write_b128 v80, v[7:10] offset:32
	v_fma_f64 v[6:7], v[41:42], 2.0, -v[17:18]
	ds_write_b128 v81, v[31:34]
	ds_write_b128 v81, v[11:14] offset:32
	v_fma_f64 v[8:9], v[57:58], 2.0, -v[27:28]
	v_fma_f64 v[10:11], v[59:60], 2.0, -v[29:30]
	v_lshlrev_b32_e32 v3, 1, v54
	v_and_or_b32 v12, v3, s6, v43
	v_lshl_add_u32 v12, v12, 4, v105
	ds_write_b128 v12, v[4:7]
	ds_write_b128 v12, v[15:18] offset:32
	v_lshlrev_b32_e32 v4, 1, v52
	v_and_or_b32 v5, v4, s6, v43
	v_lshl_add_u32 v5, v5, 4, v105
	ds_write_b128 v5, v[8:11]
	ds_write_b128 v5, v[27:30] offset:32
	v_and_b32_e32 v9, 3, v48
	v_lshlrev_b32_e32 v5, 4, v9
	s_waitcnt lgkmcnt(0)
	s_barrier
	global_load_dwordx4 v[5:8], v5, s[12:13] offset:32
	s_movk_i32 s6, 0x3f8
	v_and_or_b32 v10, v0, s4, v9
	v_and_or_b32 v11, v1, s5, v9
	;; [unrolled: 1-line block ×5, first 2 shown]
	v_lshl_add_u32 v82, v10, 4, v105
	v_lshl_add_u32 v83, v11, 4, v105
	;; [unrolled: 1-line block ×5, first 2 shown]
	ds_read_b128 v[9:12], v51 offset:8448
	ds_read_b128 v[13:16], v51 offset:9856
	;; [unrolled: 1-line block ×5, first 2 shown]
	ds_read_b128 v[29:32], v53
	ds_read_b128 v[33:36], v55
	;; [unrolled: 1-line block ×5, first 2 shown]
	s_waitcnt vmcnt(0) lgkmcnt(0)
	s_barrier
	v_and_b32_e32 v43, 7, v48
	v_lshlrev_b32_e32 v81, 4, v43
	s_movk_i32 s4, 0xf0
	s_movk_i32 s5, 0x1f0
	;; [unrolled: 1-line block ×3, first 2 shown]
	v_and_or_b32 v0, v0, s4, v43
	v_and_or_b32 v1, v1, s5, v43
	;; [unrolled: 1-line block ×5, first 2 shown]
	v_mul_f64 v[41:42], v[27:28], v[7:8]
	v_mul_f64 v[65:66], v[25:26], v[7:8]
	;; [unrolled: 1-line block ×10, first 2 shown]
	v_fma_f64 v[25:26], v[25:26], v[5:6], -v[41:42]
	v_fma_f64 v[27:28], v[27:28], v[5:6], v[65:66]
	v_fma_f64 v[9:10], v[9:10], v[5:6], -v[67:68]
	v_fma_f64 v[11:12], v[11:12], v[5:6], v[69:70]
	;; [unrolled: 2-line block ×5, first 2 shown]
	v_add_f64 v[5:6], v[29:30], -v[25:26]
	v_add_f64 v[7:8], v[31:32], -v[27:28]
	;; [unrolled: 1-line block ×10, first 2 shown]
	v_fma_f64 v[25:26], v[29:30], 2.0, -v[5:6]
	v_fma_f64 v[27:28], v[31:32], 2.0, -v[7:8]
	ds_write_b128 v82, v[5:8] offset:64
	v_fma_f64 v[5:6], v[33:34], 2.0, -v[9:10]
	v_fma_f64 v[7:8], v[35:36], 2.0, -v[11:12]
	;; [unrolled: 1-line block ×8, first 2 shown]
	ds_write_b128 v82, v[25:28]
	ds_write_b128 v83, v[5:8]
	ds_write_b128 v83, v[9:12] offset:64
	ds_write_b128 v84, v[29:32]
	ds_write_b128 v84, v[13:16] offset:64
	;; [unrolled: 2-line block ×4, first 2 shown]
	s_waitcnt lgkmcnt(0)
	s_barrier
	global_load_dwordx4 v[5:8], v81, s[12:13] offset:96
	v_lshl_add_u32 v77, v0, 4, v105
	v_lshl_add_u32 v78, v1, 4, v105
	;; [unrolled: 1-line block ×4, first 2 shown]
	ds_read_b128 v[0:3], v51 offset:8448
	ds_read_b128 v[9:12], v51 offset:9856
	;; [unrolled: 1-line block ×5, first 2 shown]
	ds_read_b128 v[28:31], v53
	ds_read_b128 v[32:35], v55
	;; [unrolled: 1-line block ×5, first 2 shown]
	v_lshl_add_u32 v81, v4, 4, v105
	s_waitcnt vmcnt(0) lgkmcnt(0)
	s_barrier
	v_mul_f64 v[25:26], v[23:24], v[7:8]
	v_mul_f64 v[36:37], v[21:22], v[7:8]
	;; [unrolled: 1-line block ×10, first 2 shown]
	v_fma_f64 v[21:22], v[21:22], v[5:6], -v[25:26]
	v_fma_f64 v[23:24], v[23:24], v[5:6], v[36:37]
	v_fma_f64 v[0:1], v[0:1], v[5:6], -v[38:39]
	v_fma_f64 v[2:3], v[2:3], v[5:6], v[65:66]
	;; [unrolled: 2-line block ×5, first 2 shown]
	v_add_f64 v[4:5], v[28:29], -v[21:22]
	v_add_f64 v[6:7], v[30:31], -v[23:24]
	;; [unrolled: 1-line block ×10, first 2 shown]
	v_fma_f64 v[0:1], v[28:29], 2.0, -v[4:5]
	v_fma_f64 v[2:3], v[30:31], 2.0, -v[6:7]
	;; [unrolled: 1-line block ×10, first 2 shown]
	ds_write_b128 v77, v[4:7] offset:128
	ds_write_b128 v77, v[0:3]
	ds_write_b128 v78, v[12:15]
	ds_write_b128 v78, v[8:11] offset:128
	ds_write_b128 v79, v[16:19]
	ds_write_b128 v79, v[20:23] offset:128
	;; [unrolled: 2-line block ×4, first 2 shown]
	s_waitcnt lgkmcnt(0)
	s_barrier
	s_waitcnt lgkmcnt(0)
                                        ; implicit-def: $vgpr42_vgpr43
	s_and_saveexec_b64 s[4:5], vcc
	s_cbranch_execz .LBB0_15
; %bb.14:
	ds_read_b128 v[0:3], v53
	ds_read_b128 v[4:7], v51 offset:1280
	ds_read_b128 v[12:15], v51 offset:2560
	;; [unrolled: 1-line block ×10, first 2 shown]
.LBB0_15:
	s_or_b64 exec, exec, s[4:5]
	s_waitcnt lgkmcnt(0)
	s_barrier
	s_and_saveexec_b64 s[4:5], vcc
	s_cbranch_execz .LBB0_17
; %bb.16:
	v_and_b32_e32 v110, 15, v48
	v_mul_u32_u24_e32 v57, 10, v110
	v_lshlrev_b32_e32 v69, 4, v57
	global_load_dwordx4 v[57:60], v69, s[12:13] offset:288
	global_load_dwordx4 v[61:64], v69, s[12:13] offset:304
	;; [unrolled: 1-line block ×10, first 2 shown]
	s_mov_b32 s8, 0x9bcd5057
	s_mov_b32 s14, 0xfd768dbf
	;; [unrolled: 1-line block ×30, first 2 shown]
	s_waitcnt vmcnt(9)
	v_mul_f64 v[69:70], v[20:21], v[59:60]
	v_mul_f64 v[79:80], v[22:23], v[59:60]
	s_waitcnt vmcnt(7)
	v_mul_f64 v[95:96], v[16:17], v[67:68]
	s_waitcnt vmcnt(6)
	v_mul_f64 v[111:112], v[12:13], v[73:74]
	v_mul_f64 v[73:74], v[14:15], v[73:74]
	s_waitcnt vmcnt(5)
	v_mul_f64 v[113:114], v[4:5], v[77:78]
	s_waitcnt vmcnt(4)
	v_mul_f64 v[115:116], v[40:41], v[83:84]
	v_mul_f64 v[85:86], v[28:29], v[63:64]
	;; [unrolled: 1-line block ×6, first 2 shown]
	s_waitcnt vmcnt(3)
	v_mul_f64 v[117:118], v[36:37], v[89:90]
	s_waitcnt vmcnt(0)
	v_mul_f64 v[125:126], v[32:33], v[103:104]
	v_mul_f64 v[103:104], v[34:35], v[103:104]
	v_fma_f64 v[59:60], v[22:23], v[57:58], v[69:70]
	v_fma_f64 v[57:58], v[20:21], v[57:58], -v[79:80]
	v_fma_f64 v[69:70], v[18:19], v[65:66], v[95:96]
	v_fma_f64 v[79:80], v[12:13], v[71:72], -v[73:74]
	v_fma_f64 v[95:96], v[6:7], v[75:76], v[113:114]
	v_fma_f64 v[12:13], v[42:43], v[81:82], v[115:116]
	v_mul_f64 v[119:120], v[24:25], v[93:94]
	v_mul_f64 v[121:122], v[38:39], v[89:90]
	;; [unrolled: 1-line block ×5, first 2 shown]
	v_fma_f64 v[30:31], v[30:31], v[61:62], v[85:86]
	v_fma_f64 v[28:29], v[28:29], v[61:62], -v[63:64]
	v_fma_f64 v[63:64], v[16:17], v[65:66], -v[67:68]
	v_fma_f64 v[85:86], v[14:15], v[71:72], v[111:112]
	v_fma_f64 v[89:90], v[4:5], v[75:76], -v[77:78]
	v_fma_f64 v[14:15], v[40:41], v[81:82], -v[83:84]
	v_fma_f64 v[16:17], v[38:39], v[87:88], v[117:118]
	v_fma_f64 v[22:23], v[34:35], v[101:102], v[125:126]
	v_fma_f64 v[20:21], v[32:33], v[101:102], -v[103:104]
	v_add_f64 v[103:104], v[95:96], v[12:13]
	v_add_f64 v[101:102], v[95:96], -v[12:13]
	v_fma_f64 v[18:19], v[36:37], v[87:88], -v[121:122]
	v_fma_f64 v[24:25], v[24:25], v[91:92], -v[93:94]
	v_fma_f64 v[83:84], v[10:11], v[97:98], v[123:124]
	v_fma_f64 v[81:82], v[8:9], v[97:98], -v[99:100]
	v_add_f64 v[93:94], v[85:86], v[16:17]
	v_add_f64 v[99:100], v[89:90], -v[14:15]
	v_add_f64 v[77:78], v[85:86], -v[16:17]
	v_add_f64 v[97:98], v[89:90], v[14:15]
	v_mul_f64 v[4:5], v[103:104], s[8:9]
	v_mul_f64 v[6:7], v[101:102], s[18:19]
	v_fma_f64 v[26:27], v[26:27], v[91:92], v[119:120]
	v_add_f64 v[75:76], v[79:80], -v[18:19]
	v_add_f64 v[40:41], v[79:80], v[18:19]
	v_add_f64 v[91:92], v[83:84], v[22:23]
	v_add_f64 v[65:66], v[83:84], -v[22:23]
	v_mul_f64 v[8:9], v[93:94], s[6:7]
	v_mul_f64 v[10:11], v[77:78], s[16:17]
	v_fma_f64 v[127:128], v[99:100], s[14:15], v[4:5]
	v_fma_f64 v[131:132], v[97:98], s[8:9], v[6:7]
	;; [unrolled: 1-line block ×3, first 2 shown]
	v_add_f64 v[71:72], v[81:82], -v[20:21]
	v_add_f64 v[34:35], v[81:82], v[20:21]
	v_add_f64 v[87:88], v[69:70], v[26:27]
	v_add_f64 v[73:74], v[69:70], -v[26:27]
	v_mul_f64 v[111:112], v[91:92], s[20:21]
	v_mul_f64 v[113:114], v[65:66], s[22:23]
	v_fma_f64 v[133:134], v[75:76], s[24:25], v[8:9]
	v_fma_f64 v[6:7], v[97:98], s[8:9], -v[6:7]
	v_fma_f64 v[135:136], v[40:41], s[6:7], v[10:11]
	v_fma_f64 v[8:9], v[75:76], s[16:17], v[8:9]
	v_add_f64 v[127:128], v[2:3], v[127:128]
	v_add_f64 v[131:132], v[0:1], v[131:132]
	;; [unrolled: 1-line block ×3, first 2 shown]
	v_add_f64 v[67:68], v[63:64], -v[24:25]
	v_add_f64 v[61:62], v[63:64], v[24:25]
	v_add_f64 v[38:39], v[59:60], v[30:31]
	v_mul_f64 v[115:116], v[87:88], s[26:27]
	v_mul_f64 v[117:118], v[73:74], s[40:41]
	;; [unrolled: 1-line block ×4, first 2 shown]
	v_fma_f64 v[10:11], v[40:41], s[6:7], -v[10:11]
	v_fma_f64 v[137:138], v[71:72], s[30:31], v[111:112]
	v_fma_f64 v[139:140], v[34:35], s[20:21], v[113:114]
	;; [unrolled: 1-line block ×3, first 2 shown]
	v_add_f64 v[6:7], v[0:1], v[6:7]
	v_add_f64 v[127:128], v[133:134], v[127:128]
	;; [unrolled: 1-line block ×4, first 2 shown]
	v_add_f64 v[32:33], v[57:58], -v[28:29]
	v_add_f64 v[42:43], v[59:60], -v[30:31]
	v_mul_f64 v[119:120], v[38:39], s[28:29]
	v_mul_f64 v[125:126], v[93:94], s[28:29]
	v_fma_f64 v[113:114], v[34:35], s[20:21], -v[113:114]
	v_fma_f64 v[133:134], v[67:68], s[36:37], v[115:116]
	v_fma_f64 v[135:136], v[61:62], s[26:27], v[117:118]
	;; [unrolled: 1-line block ×3, first 2 shown]
	v_add_f64 v[6:7], v[10:11], v[6:7]
	v_add_f64 v[8:9], v[137:138], v[127:128]
	v_fma_f64 v[10:11], v[99:100], s[30:31], v[123:124]
	v_add_f64 v[131:132], v[139:140], v[131:132]
	v_fma_f64 v[139:140], v[97:98], s[20:21], v[129:130]
	v_add_f64 v[4:5], v[111:112], v[4:5]
	v_mul_f64 v[111:112], v[77:78], s[38:39]
	v_add_f64 v[36:37], v[57:58], v[28:29]
	v_mul_f64 v[121:122], v[42:43], s[34:35]
	v_fma_f64 v[127:128], v[32:33], s[38:39], v[119:120]
	v_add_f64 v[6:7], v[113:114], v[6:7]
	v_add_f64 v[8:9], v[133:134], v[8:9]
	v_fma_f64 v[113:114], v[61:62], s[26:27], -v[117:118]
	v_add_f64 v[117:118], v[135:136], v[131:132]
	v_fma_f64 v[131:132], v[75:76], s[34:35], v[125:126]
	v_add_f64 v[10:11], v[2:3], v[10:11]
	v_add_f64 v[115:116], v[115:116], v[4:5]
	v_mul_f64 v[133:134], v[91:92], s[6:7]
	v_add_f64 v[4:5], v[0:1], v[139:140]
	v_fma_f64 v[135:136], v[40:41], s[28:29], v[111:112]
	v_mul_f64 v[139:140], v[65:66], s[24:25]
	v_fma_f64 v[137:138], v[36:37], s[28:29], v[121:122]
	v_fma_f64 v[119:120], v[32:33], s[34:35], v[119:120]
	v_add_f64 v[113:114], v[113:114], v[6:7]
	v_add_f64 v[6:7], v[127:128], v[8:9]
	;; [unrolled: 1-line block ×3, first 2 shown]
	v_fma_f64 v[10:11], v[71:72], s[16:17], v[133:134]
	v_mul_f64 v[127:128], v[87:88], s[8:9]
	v_add_f64 v[131:132], v[135:136], v[4:5]
	v_fma_f64 v[135:136], v[34:35], s[6:7], v[139:140]
	v_mul_f64 v[141:142], v[73:74], s[18:19]
	v_fma_f64 v[121:122], v[36:37], s[28:29], -v[121:122]
	v_fma_f64 v[129:130], v[97:98], s[20:21], -v[129:130]
	v_add_f64 v[4:5], v[137:138], v[117:118]
	v_fma_f64 v[117:118], v[99:100], s[22:23], v[123:124]
	v_add_f64 v[123:124], v[10:11], v[8:9]
	v_fma_f64 v[137:138], v[67:68], s[14:15], v[127:128]
	;; [unrolled: 2-line block ×3, first 2 shown]
	v_add_f64 v[10:11], v[119:120], v[115:116]
	v_add_f64 v[8:9], v[121:122], v[113:114]
	v_fma_f64 v[111:112], v[40:41], s[28:29], -v[111:112]
	v_add_f64 v[113:114], v[0:1], v[129:130]
	v_mul_f64 v[119:120], v[103:104], s[28:29]
	v_fma_f64 v[125:126], v[75:76], s[38:39], v[125:126]
	v_add_f64 v[117:118], v[2:3], v[117:118]
	v_add_f64 v[115:116], v[137:138], v[123:124]
	;; [unrolled: 1-line block ×3, first 2 shown]
	v_fma_f64 v[123:124], v[71:72], s[24:25], v[133:134]
	v_mul_f64 v[129:130], v[101:102], s[34:35]
	v_add_f64 v[111:112], v[111:112], v[113:114]
	v_fma_f64 v[113:114], v[34:35], s[6:7], -v[139:140]
	v_fma_f64 v[131:132], v[99:100], s[38:39], v[119:120]
	v_mul_f64 v[133:134], v[93:94], s[8:9]
	v_add_f64 v[117:118], v[125:126], v[117:118]
	v_mul_f64 v[125:126], v[38:39], s[26:27]
	v_mul_f64 v[139:140], v[77:78], s[14:15]
	v_fma_f64 v[137:138], v[97:98], s[28:29], v[129:130]
	v_mul_f64 v[143:144], v[91:92], s[26:27]
	v_add_f64 v[111:112], v[113:114], v[111:112]
	v_add_f64 v[113:114], v[2:3], v[131:132]
	v_fma_f64 v[131:132], v[75:76], s[18:19], v[133:134]
	v_mul_f64 v[135:136], v[42:43], s[40:41]
	v_add_f64 v[117:118], v[123:124], v[117:118]
	v_fma_f64 v[123:124], v[32:33], s[36:37], v[125:126]
	v_fma_f64 v[127:128], v[67:68], s[18:19], v[127:128]
	v_add_f64 v[137:138], v[0:1], v[137:138]
	v_fma_f64 v[147:148], v[40:41], s[8:9], v[139:140]
	v_mul_f64 v[149:150], v[65:66], s[40:41]
	v_add_f64 v[131:132], v[131:132], v[113:114]
	v_fma_f64 v[151:152], v[71:72], s[36:37], v[143:144]
	v_mul_f64 v[153:154], v[87:88], s[6:7]
	v_fma_f64 v[145:146], v[36:37], s[26:27], v[135:136]
	v_fma_f64 v[141:142], v[61:62], s[8:9], -v[141:142]
	v_add_f64 v[113:114], v[123:124], v[115:116]
	v_add_f64 v[115:116], v[127:128], v[117:118]
	;; [unrolled: 1-line block ×3, first 2 shown]
	v_fma_f64 v[123:124], v[34:35], s[26:27], v[149:150]
	v_fma_f64 v[125:126], v[32:33], s[40:41], v[125:126]
	v_add_f64 v[131:132], v[151:152], v[131:132]
	v_fma_f64 v[137:138], v[67:68], s[16:17], v[153:154]
	v_mul_f64 v[147:148], v[38:39], s[20:21]
	v_mul_f64 v[127:128], v[73:74], s[24:25]
	v_add_f64 v[141:142], v[141:142], v[111:112]
	v_add_f64 v[111:112], v[145:146], v[121:122]
	;; [unrolled: 1-line block ×4, first 2 shown]
	v_fma_f64 v[119:120], v[99:100], s[34:35], v[119:120]
	v_add_f64 v[121:122], v[137:138], v[131:132]
	v_fma_f64 v[125:126], v[32:33], s[30:31], v[147:148]
	v_fma_f64 v[135:136], v[36:37], s[26:27], -v[135:136]
	v_fma_f64 v[151:152], v[61:62], s[6:7], v[127:128]
	v_mul_f64 v[131:132], v[103:104], s[26:27]
	v_mul_f64 v[137:138], v[101:102], s[36:37]
	v_fma_f64 v[133:134], v[75:76], s[14:15], v[133:134]
	v_add_f64 v[119:120], v[2:3], v[119:120]
	v_mul_f64 v[155:156], v[77:78], s[22:23]
	v_add_f64 v[121:122], v[125:126], v[121:122]
	v_fma_f64 v[125:126], v[97:98], s[28:29], -v[129:130]
	v_add_f64 v[115:116], v[135:136], v[141:142]
	v_add_f64 v[123:124], v[151:152], v[123:124]
	v_fma_f64 v[129:130], v[99:100], s[40:41], v[131:132]
	v_mul_f64 v[141:142], v[93:94], s[20:21]
	v_fma_f64 v[151:152], v[97:98], s[26:27], v[137:138]
	v_add_f64 v[119:120], v[133:134], v[119:120]
	v_fma_f64 v[133:134], v[40:41], s[8:9], -v[139:140]
	v_add_f64 v[125:126], v[0:1], v[125:126]
	v_mul_f64 v[157:158], v[91:92], s[8:9]
	v_fma_f64 v[159:160], v[40:41], s[20:21], v[155:156]
	v_add_f64 v[129:130], v[2:3], v[129:130]
	v_fma_f64 v[139:140], v[75:76], s[30:31], v[141:142]
	v_add_f64 v[151:152], v[0:1], v[151:152]
	v_mul_f64 v[161:162], v[65:66], s[14:15]
	v_fma_f64 v[143:144], v[71:72], s[40:41], v[143:144]
	v_add_f64 v[125:126], v[133:134], v[125:126]
	v_fma_f64 v[133:134], v[34:35], s[26:27], -v[149:150]
	v_add_f64 v[95:96], v[2:3], v[95:96]
	v_add_f64 v[89:90], v[0:1], v[89:90]
	;; [unrolled: 1-line block ×3, first 2 shown]
	v_fma_f64 v[139:140], v[71:72], s[18:19], v[157:158]
	v_mul_f64 v[149:150], v[87:88], s[28:29]
	v_add_f64 v[151:152], v[159:160], v[151:152]
	v_fma_f64 v[159:160], v[34:35], s[8:9], v[161:162]
	v_mul_f64 v[163:164], v[73:74], s[38:39]
	v_mul_f64 v[135:136], v[42:43], s[22:23]
	v_add_f64 v[119:120], v[143:144], v[119:120]
	v_fma_f64 v[143:144], v[67:68], s[24:25], v[153:154]
	v_add_f64 v[125:126], v[133:134], v[125:126]
	v_fma_f64 v[127:128], v[61:62], s[6:7], -v[127:128]
	v_add_f64 v[85:86], v[95:96], v[85:86]
	v_add_f64 v[79:80], v[89:90], v[79:80]
	;; [unrolled: 1-line block ×3, first 2 shown]
	v_fma_f64 v[133:134], v[67:68], s[34:35], v[149:150]
	v_add_f64 v[139:140], v[159:160], v[151:152]
	v_fma_f64 v[151:152], v[61:62], s[28:29], v[163:164]
	v_mul_f64 v[153:154], v[38:39], s[6:7]
	v_fma_f64 v[145:146], v[36:37], s[20:21], v[135:136]
	v_mul_f64 v[159:160], v[42:43], s[16:17]
	v_add_f64 v[143:144], v[143:144], v[119:120]
	v_add_f64 v[125:126], v[127:128], v[125:126]
	v_fma_f64 v[127:128], v[32:33], s[22:23], v[147:148]
	v_add_f64 v[83:84], v[85:86], v[83:84]
	v_add_f64 v[79:80], v[79:80], v[81:82]
	v_fma_f64 v[135:136], v[36:37], s[20:21], -v[135:136]
	v_add_f64 v[129:130], v[133:134], v[129:130]
	v_add_f64 v[133:134], v[151:152], v[139:140]
	v_fma_f64 v[139:140], v[32:33], s[24:25], v[153:154]
	v_fma_f64 v[147:148], v[36:37], s[6:7], v[159:160]
	v_add_f64 v[119:120], v[145:146], v[123:124]
	v_mul_f64 v[145:146], v[103:104], s[6:7]
	v_add_f64 v[103:104], v[127:128], v[143:144]
	v_mul_f64 v[127:128], v[101:102], s[24:25]
	v_fma_f64 v[131:132], v[99:100], s[36:37], v[131:132]
	v_add_f64 v[69:70], v[83:84], v[69:70]
	v_add_f64 v[63:64], v[79:80], v[63:64]
	;; [unrolled: 1-line block ×4, first 2 shown]
	v_fma_f64 v[129:130], v[97:98], s[26:27], -v[137:138]
	v_add_f64 v[123:124], v[147:148], v[133:134]
	v_fma_f64 v[133:134], v[99:100], s[16:17], v[145:146]
	v_fma_f64 v[135:136], v[97:98], s[6:7], v[127:128]
	v_fma_f64 v[97:98], v[97:98], s[6:7], -v[127:128]
	v_add_f64 v[127:128], v[2:3], v[131:132]
	v_fma_f64 v[131:132], v[75:76], s[22:23], v[141:142]
	v_mul_f64 v[93:94], v[93:94], s[26:27]
	v_add_f64 v[59:60], v[69:70], v[59:60]
	v_add_f64 v[57:58], v[63:64], v[57:58]
	v_fma_f64 v[99:100], v[99:100], s[24:25], v[145:146]
	v_add_f64 v[129:130], v[0:1], v[129:130]
	v_fma_f64 v[137:138], v[40:41], s[20:21], -v[155:156]
	v_mul_f64 v[77:78], v[77:78], s[36:37]
	v_add_f64 v[133:134], v[2:3], v[133:134]
	v_add_f64 v[95:96], v[131:132], v[127:128]
	v_fma_f64 v[127:128], v[71:72], s[14:15], v[157:158]
	v_fma_f64 v[131:132], v[75:76], s[40:41], v[93:94]
	v_mul_f64 v[91:92], v[91:92], s[28:29]
	v_add_f64 v[30:31], v[59:60], v[30:31]
	v_add_f64 v[28:29], v[57:58], v[28:29]
	;; [unrolled: 1-line block ×4, first 2 shown]
	v_fma_f64 v[129:130], v[34:35], s[8:9], -v[161:162]
	v_add_f64 v[2:3], v[2:3], v[99:100]
	v_mul_f64 v[81:82], v[87:88], s[20:21]
	v_add_f64 v[0:1], v[0:1], v[97:98]
	v_fma_f64 v[75:76], v[75:76], s[36:37], v[93:94]
	v_fma_f64 v[69:70], v[40:41], s[26:27], v[77:78]
	v_mul_f64 v[73:74], v[73:74], s[22:23]
	v_mul_f64 v[65:66], v[65:66], s[34:35]
	v_fma_f64 v[40:41], v[40:41], s[26:27], -v[77:78]
	v_add_f64 v[85:86], v[127:128], v[95:96]
	v_add_f64 v[95:96], v[131:132], v[133:134]
	v_fma_f64 v[99:100], v[71:72], s[38:39], v[91:92]
	v_add_f64 v[26:27], v[30:31], v[26:27]
	v_add_f64 v[24:25], v[28:29], v[24:25]
	;; [unrolled: 1-line block ×3, first 2 shown]
	v_fma_f64 v[83:84], v[67:68], s[38:39], v[149:150]
	v_fma_f64 v[89:90], v[61:62], s[28:29], -v[163:164]
	v_fma_f64 v[79:80], v[67:68], s[30:31], v[81:82]
	v_fma_f64 v[71:72], v[71:72], s[34:35], v[91:92]
	v_add_f64 v[2:3], v[75:76], v[2:3]
	v_fma_f64 v[57:58], v[67:68], s[22:23], v[81:82]
	v_fma_f64 v[67:68], v[61:62], s[20:21], v[73:74]
	v_fma_f64 v[30:31], v[61:62], s[20:21], -v[73:74]
	v_fma_f64 v[61:62], v[34:35], s[28:29], -v[65:66]
	v_add_f64 v[0:1], v[40:41], v[0:1]
	v_add_f64 v[95:96], v[99:100], v[95:96]
	;; [unrolled: 1-line block ×3, first 2 shown]
	v_mul_f64 v[28:29], v[38:39], s[8:9]
	v_fma_f64 v[34:35], v[34:35], s[28:29], v[65:66]
	v_add_f64 v[22:23], v[26:27], v[22:23]
	v_add_f64 v[20:21], v[24:25], v[20:21]
	;; [unrolled: 1-line block ×3, first 2 shown]
	v_mul_f64 v[38:39], v[42:43], s[18:19]
	v_add_f64 v[0:1], v[61:62], v[0:1]
	v_add_f64 v[63:64], v[79:80], v[95:96]
	v_fma_f64 v[24:25], v[32:33], s[14:15], v[28:29]
	v_add_f64 v[34:35], v[34:35], v[59:60]
	v_add_f64 v[22:23], v[22:23], v[16:17]
	;; [unrolled: 1-line block ×3, first 2 shown]
	v_fma_f64 v[26:27], v[32:33], s[16:17], v[153:154]
	v_fma_f64 v[40:41], v[36:37], s[6:7], -v[159:160]
	v_fma_f64 v[42:43], v[36:37], s[8:9], v[38:39]
	v_fma_f64 v[28:29], v[32:33], s[18:19], v[28:29]
	v_add_f64 v[32:33], v[57:58], v[2:3]
	v_fma_f64 v[36:37], v[36:37], s[8:9], -v[38:39]
	v_add_f64 v[30:31], v[30:31], v[0:1]
	v_add_f64 v[83:84], v[83:84], v[85:86]
	;; [unrolled: 1-line block ×11, first 2 shown]
	v_lshrrev_b32_e32 v12, 4, v48
	v_mul_u32_u24_e32 v12, 0xb0, v12
	v_or_b32_e32 v12, v12, v110
	v_lshlrev_b32_e32 v12, 4, v12
	v_add3_u32 v12, 0, v12, v106
	v_add_f64 v[14:15], v[42:43], v[34:35]
	ds_write_b128 v12, v[22:25]
	ds_write_b128 v12, v[18:21] offset:256
	ds_write_b128 v12, v[0:3] offset:512
	;; [unrolled: 1-line block ×10, first 2 shown]
.LBB0_17:
	s_or_b64 exec, exec, s[4:5]
	v_lshlrev_b32_e32 v1, 2, v48
	v_mov_b32_e32 v2, 0
	v_lshlrev_b64 v[0:1], 4, v[1:2]
	v_mov_b32_e32 v19, s13
	v_add_co_u32_e32 v0, vcc, s12, v0
	v_addc_co_u32_e32 v1, vcc, v19, v1, vcc
	s_waitcnt lgkmcnt(0)
	s_barrier
	global_load_dwordx4 v[3:6], v[0:1], off offset:2800
	global_load_dwordx4 v[7:10], v[0:1], off offset:2784
	;; [unrolled: 1-line block ×4, first 2 shown]
	v_lshlrev_b32_e32 v1, 2, v50
	v_lshlrev_b64 v[0:1], 4, v[1:2]
	s_mov_b32 s8, 0x134454ff
	v_add_co_u32_e32 v0, vcc, s12, v0
	v_addc_co_u32_e32 v1, vcc, v19, v1, vcc
	global_load_dwordx4 v[19:22], v[0:1], off offset:2784
	global_load_dwordx4 v[23:26], v[0:1], off offset:2800
	;; [unrolled: 1-line block ×4, first 2 shown]
	ds_read_b128 v[35:38], v108
	ds_read_b128 v[39:42], v55
	;; [unrolled: 1-line block ×5, first 2 shown]
	ds_read_b128 v[69:72], v51 offset:7040
	ds_read_b128 v[73:76], v51 offset:8448
	;; [unrolled: 1-line block ×5, first 2 shown]
	s_mov_b32 s9, 0x3fee6f0e
	s_mov_b32 s17, 0xbfee6f0e
	;; [unrolled: 1-line block ×9, first 2 shown]
	s_waitcnt vmcnt(0) lgkmcnt(0)
	s_barrier
	v_cmp_ne_u32_e32 vcc, 0, v48
	v_mul_f64 v[89:90], v[59:60], v[5:6]
	v_mul_f64 v[0:1], v[37:38], v[9:10]
	v_mul_f64 v[9:10], v[35:36], v[9:10]
	v_mul_f64 v[5:6], v[57:58], v[5:6]
	v_mul_f64 v[91:92], v[75:76], v[17:18]
	v_mul_f64 v[17:18], v[73:74], v[17:18]
	v_mul_f64 v[93:94], v[83:84], v[13:14]
	v_mul_f64 v[13:14], v[81:82], v[13:14]
	v_mul_f64 v[95:96], v[63:64], v[21:22]
	v_mul_f64 v[21:22], v[61:62], v[21:22]
	v_fma_f64 v[0:1], v[35:36], v[7:8], -v[0:1]
	v_fma_f64 v[7:8], v[37:38], v[7:8], v[9:10]
	v_fma_f64 v[9:10], v[57:58], v[3:4], -v[89:90]
	v_fma_f64 v[3:4], v[59:60], v[3:4], v[5:6]
	v_fma_f64 v[5:6], v[73:74], v[15:16], -v[91:92]
	v_mul_f64 v[99:100], v[79:80], v[29:30]
	v_mul_f64 v[29:30], v[77:78], v[29:30]
	;; [unrolled: 1-line block ×4, first 2 shown]
	v_fma_f64 v[15:16], v[75:76], v[15:16], v[17:18]
	v_fma_f64 v[17:18], v[81:82], v[11:12], -v[93:94]
	v_mul_f64 v[97:98], v[71:72], v[25:26]
	v_fma_f64 v[11:12], v[83:84], v[11:12], v[13:14]
	v_fma_f64 v[35:36], v[61:62], v[19:20], -v[95:96]
	v_fma_f64 v[37:38], v[63:64], v[19:20], v[21:22]
	v_add_f64 v[13:14], v[65:66], v[0:1]
	v_add_f64 v[19:20], v[9:10], v[5:6]
	v_mul_f64 v[25:26], v[69:70], v[25:26]
	v_fma_f64 v[59:60], v[77:78], v[27:28], -v[99:100]
	v_fma_f64 v[29:30], v[79:80], v[27:28], v[29:30]
	v_fma_f64 v[61:62], v[85:86], v[31:32], -v[101:102]
	v_fma_f64 v[33:34], v[87:88], v[31:32], v[33:34]
	v_add_f64 v[27:28], v[0:1], -v[9:10]
	v_add_f64 v[31:32], v[17:18], -v[5:6]
	v_add_f64 v[63:64], v[0:1], v[17:18]
	v_fma_f64 v[57:58], v[69:70], v[23:24], -v[97:98]
	v_add_f64 v[21:22], v[7:8], -v[11:12]
	v_add_f64 v[69:70], v[9:10], -v[0:1]
	v_add_f64 v[73:74], v[67:68], v[7:8]
	v_add_f64 v[77:78], v[9:10], -v[5:6]
	v_add_f64 v[9:10], v[13:14], v[9:10]
	v_fma_f64 v[13:14], v[19:20], -0.5, v[65:66]
	v_fma_f64 v[25:26], v[71:72], v[23:24], v[25:26]
	v_add_f64 v[23:24], v[3:4], -v[15:16]
	v_add_f64 v[71:72], v[5:6], -v[17:18]
	;; [unrolled: 1-line block ×3, first 2 shown]
	v_add_f64 v[83:84], v[7:8], v[11:12]
	v_add_f64 v[85:86], v[3:4], -v[7:8]
	v_add_f64 v[7:8], v[39:40], v[35:36]
	v_add_f64 v[19:20], v[27:28], v[31:32]
	v_fma_f64 v[27:28], v[63:64], -0.5, v[65:66]
	v_add_f64 v[75:76], v[3:4], v[15:16]
	v_add_f64 v[89:90], v[57:58], v[59:60]
	;; [unrolled: 1-line block ×4, first 2 shown]
	v_fma_f64 v[9:10], v[21:22], s[16:17], v[13:14]
	v_add_f64 v[31:32], v[69:70], v[71:72]
	v_add_f64 v[69:70], v[7:8], v[57:58]
	v_fma_f64 v[7:8], v[21:22], s[8:9], v[13:14]
	v_fma_f64 v[13:14], v[23:24], s[16:17], v[27:28]
	;; [unrolled: 1-line block ×3, first 2 shown]
	v_fma_f64 v[63:64], v[75:76], -0.5, v[67:68]
	v_fma_f64 v[67:68], v[83:84], -0.5, v[67:68]
	v_add_f64 v[0:1], v[0:1], -v[17:18]
	v_add_f64 v[81:82], v[11:12], -v[15:16]
	;; [unrolled: 1-line block ×4, first 2 shown]
	v_fma_f64 v[71:72], v[89:90], -0.5, v[39:40]
	v_add_f64 v[15:16], v[3:4], v[15:16]
	v_fma_f64 v[9:10], v[23:24], s[14:15], v[9:10]
	v_fma_f64 v[7:8], v[23:24], s[4:5], v[7:8]
	;; [unrolled: 1-line block ×6, first 2 shown]
	v_add_f64 v[93:94], v[25:26], -v[29:30]
	v_add_f64 v[95:96], v[35:36], -v[57:58]
	v_fma_f64 v[73:74], v[0:1], s[16:17], v[63:64]
	v_fma_f64 v[63:64], v[0:1], s[8:9], v[63:64]
	;; [unrolled: 1-line block ×3, first 2 shown]
	v_add_f64 v[3:4], v[5:6], v[17:18]
	v_add_f64 v[5:6], v[15:16], v[11:12]
	v_fma_f64 v[11:12], v[19:20], s[6:7], v[9:10]
	v_add_f64 v[9:10], v[61:62], -v[59:60]
	v_fma_f64 v[7:8], v[19:20], s[6:7], v[7:8]
	v_fma_f64 v[19:20], v[31:32], s[6:7], v[21:22]
	v_add_f64 v[21:22], v[35:36], v[61:62]
	v_fma_f64 v[15:16], v[31:32], s[6:7], v[13:14]
	v_fma_f64 v[27:28], v[0:1], s[14:15], v[75:76]
	v_add_f64 v[31:32], v[85:86], v[87:88]
	v_fma_f64 v[0:1], v[0:1], s[4:5], v[67:68]
	v_add_f64 v[65:66], v[79:80], v[81:82]
	v_fma_f64 v[17:18], v[77:78], s[14:15], v[73:74]
	v_fma_f64 v[13:14], v[77:78], s[4:5], v[63:64]
	v_add_f64 v[63:64], v[69:70], v[59:60]
	v_fma_f64 v[67:68], v[93:94], s[4:5], v[23:24]
	v_add_f64 v[69:70], v[95:96], v[9:10]
	v_fma_f64 v[39:40], v[21:22], -0.5, v[39:40]
	v_fma_f64 v[21:22], v[31:32], s[6:7], v[0:1]
	v_add_f64 v[0:1], v[25:26], v[29:30]
	v_fma_f64 v[9:10], v[65:66], s[6:7], v[17:18]
	v_fma_f64 v[17:18], v[31:32], s[6:7], v[27:28]
	v_add_f64 v[23:24], v[63:64], v[61:62]
	v_add_f64 v[73:74], v[41:42], v[37:38]
	v_fma_f64 v[27:28], v[69:70], s[6:7], v[67:68]
	v_add_f64 v[67:68], v[37:38], v[33:34]
	v_fma_f64 v[63:64], v[93:94], s[16:17], v[39:40]
	v_fma_f64 v[13:14], v[65:66], s[6:7], v[13:14]
	v_fma_f64 v[31:32], v[91:92], s[16:17], v[71:72]
	v_add_f64 v[65:66], v[57:58], -v[35:36]
	v_add_f64 v[71:72], v[59:60], -v[61:62]
	v_fma_f64 v[0:1], v[0:1], -0.5, v[41:42]
	v_add_f64 v[35:36], v[35:36], -v[61:62]
	v_add_f64 v[57:58], v[57:58], -v[59:60]
	v_fma_f64 v[41:42], v[67:68], -0.5, v[41:42]
	v_fma_f64 v[61:62], v[91:92], s[4:5], v[63:64]
	v_add_f64 v[63:64], v[73:74], v[25:26]
	v_add_f64 v[67:68], v[37:38], -v[25:26]
	v_add_f64 v[59:60], v[65:66], v[71:72]
	v_add_f64 v[71:72], v[33:34], -v[29:30]
	v_fma_f64 v[65:66], v[35:36], s[16:17], v[0:1]
	v_fma_f64 v[0:1], v[35:36], s[8:9], v[0:1]
	;; [unrolled: 1-line block ×3, first 2 shown]
	v_add_f64 v[25:26], v[25:26], -v[37:38]
	v_add_f64 v[37:38], v[29:30], -v[33:34]
	v_fma_f64 v[39:40], v[93:94], s[8:9], v[39:40]
	v_fma_f64 v[41:42], v[57:58], s[16:17], v[41:42]
	v_add_f64 v[29:30], v[63:64], v[29:30]
	v_fma_f64 v[63:64], v[57:58], s[14:15], v[65:66]
	v_add_f64 v[65:66], v[67:68], v[71:72]
	v_fma_f64 v[0:1], v[57:58], s[4:5], v[0:1]
	v_fma_f64 v[57:58], v[35:36], s[14:15], v[73:74]
	v_add_f64 v[67:68], v[25:26], v[37:38]
	v_fma_f64 v[31:32], v[93:94], s[14:15], v[31:32]
	v_fma_f64 v[39:40], v[91:92], s[14:15], v[39:40]
	;; [unrolled: 1-line block ×3, first 2 shown]
	v_add_f64 v[25:26], v[29:30], v[33:34]
	v_fma_f64 v[29:30], v[65:66], s[6:7], v[63:64]
	v_fma_f64 v[35:36], v[59:60], s[6:7], v[61:62]
	;; [unrolled: 1-line block ×7, first 2 shown]
	ds_write_b128 v51, v[3:6]
	ds_write_b128 v51, v[7:10] offset:2816
	ds_write_b128 v51, v[15:18] offset:5632
	;; [unrolled: 1-line block ×4, first 2 shown]
	ds_write_b128 v55, v[23:26]
	ds_write_b128 v55, v[27:30] offset:2816
	ds_write_b128 v55, v[35:38] offset:5632
	;; [unrolled: 1-line block ×4, first 2 shown]
	s_waitcnt lgkmcnt(0)
	s_barrier
	ds_read_b128 v[4:7], v53
	s_add_u32 s6, s12, 0x36e0
	s_addc_u32 s7, s13, 0
	v_sub_u32_e32 v12, v105, v49
                                        ; implicit-def: $vgpr0_vgpr1
                                        ; implicit-def: $vgpr8_vgpr9
                                        ; implicit-def: $vgpr10_vgpr11
	s_and_saveexec_b64 s[4:5], vcc
	s_xor_b64 s[4:5], exec, s[4:5]
	s_cbranch_execz .LBB0_19
; %bb.18:
	v_mov_b32_e32 v49, v2
	v_lshlrev_b64 v[0:1], 4, v[48:49]
	v_mov_b32_e32 v2, s7
	v_add_co_u32_e32 v0, vcc, s6, v0
	v_addc_co_u32_e32 v1, vcc, v2, v1, vcc
	global_load_dwordx4 v[13:16], v[0:1], off
	ds_read_b128 v[0:3], v12 offset:14080
	s_waitcnt lgkmcnt(0)
	v_add_f64 v[8:9], v[4:5], -v[0:1]
	v_add_f64 v[10:11], v[6:7], v[2:3]
	v_add_f64 v[2:3], v[6:7], -v[2:3]
	v_add_f64 v[0:1], v[4:5], v[0:1]
	v_mul_f64 v[6:7], v[8:9], 0.5
	v_mul_f64 v[4:5], v[10:11], 0.5
	;; [unrolled: 1-line block ×3, first 2 shown]
	s_waitcnt vmcnt(0)
	v_mul_f64 v[8:9], v[6:7], v[15:16]
	v_fma_f64 v[10:11], v[4:5], v[15:16], v[2:3]
	v_fma_f64 v[2:3], v[4:5], v[15:16], -v[2:3]
	v_fma_f64 v[17:18], v[0:1], 0.5, v[8:9]
	v_fma_f64 v[0:1], v[0:1], 0.5, -v[8:9]
	v_fma_f64 v[10:11], -v[13:14], v[6:7], v[10:11]
	v_fma_f64 v[2:3], -v[13:14], v[6:7], v[2:3]
	v_fma_f64 v[8:9], v[4:5], v[13:14], v[17:18]
	v_fma_f64 v[0:1], -v[4:5], v[13:14], v[0:1]
                                        ; implicit-def: $vgpr4_vgpr5
.LBB0_19:
	s_andn2_saveexec_b64 s[4:5], s[4:5]
	s_cbranch_execz .LBB0_21
; %bb.20:
	s_waitcnt lgkmcnt(0)
	v_add_f64 v[8:9], v[4:5], v[6:7]
	ds_read_b64 v[2:3], v105 offset:7048
	v_add_f64 v[0:1], v[4:5], -v[6:7]
	v_mov_b32_e32 v10, 0
	v_mov_b32_e32 v11, 0
	s_waitcnt lgkmcnt(0)
	v_xor_b32_e32 v3, 0x80000000, v3
	ds_write_b64 v105, v[2:3] offset:7048
	v_mov_b32_e32 v2, v10
	v_mov_b32_e32 v3, v11
.LBB0_21:
	s_or_b64 exec, exec, s[4:5]
	v_mov_b32_e32 v51, 0
	s_waitcnt lgkmcnt(0)
	v_lshlrev_b64 v[4:5], 4, v[50:51]
	v_mov_b32_e32 v6, s7
	v_add_co_u32_e32 v4, vcc, s6, v4
	v_addc_co_u32_e32 v5, vcc, v6, v5, vcc
	global_load_dwordx4 v[4:7], v[4:5], off
	v_mov_b32_e32 v57, v51
	v_lshlrev_b64 v[13:14], 4, v[56:57]
	v_mov_b32_e32 v15, s7
	v_add_co_u32_e32 v13, vcc, s6, v13
	v_addc_co_u32_e32 v14, vcc, v15, v14, vcc
	global_load_dwordx4 v[13:16], v[13:14], off
	ds_write2_b64 v53, v[8:9], v[10:11] offset1:1
	ds_write_b128 v12, v[0:3] offset:14080
	v_lshl_add_u32 v25, v50, 4, v105
	ds_read_b128 v[0:3], v25
	ds_read_b128 v[8:11], v12 offset:12672
	v_mov_b32_e32 v55, v51
	v_mov_b32_e32 v26, s7
	;; [unrolled: 1-line block ×3, first 2 shown]
	s_waitcnt lgkmcnt(0)
	v_add_f64 v[17:18], v[0:1], -v[8:9]
	v_add_f64 v[19:20], v[2:3], v[10:11]
	v_add_f64 v[2:3], v[2:3], -v[10:11]
	v_add_f64 v[0:1], v[0:1], v[8:9]
	v_mul_f64 v[10:11], v[17:18], 0.5
	v_mul_f64 v[17:18], v[19:20], 0.5
	;; [unrolled: 1-line block ×3, first 2 shown]
	v_lshlrev_b64 v[19:20], 4, v[54:55]
	s_waitcnt vmcnt(1)
	v_mul_f64 v[8:9], v[10:11], v[6:7]
	v_fma_f64 v[21:22], v[17:18], v[6:7], v[2:3]
	v_fma_f64 v[6:7], v[17:18], v[6:7], -v[2:3]
	v_fma_f64 v[23:24], v[0:1], 0.5, v[8:9]
	v_fma_f64 v[8:9], v[0:1], 0.5, -v[8:9]
	v_add_co_u32_e32 v0, vcc, s6, v19
	v_addc_co_u32_e32 v1, vcc, v26, v20, vcc
	global_load_dwordx4 v[0:3], v[0:1], off
	v_fma_f64 v[19:20], -v[4:5], v[10:11], v[21:22]
	v_fma_f64 v[6:7], -v[4:5], v[10:11], v[6:7]
	v_fma_f64 v[10:11], v[17:18], v[4:5], v[23:24]
	v_fma_f64 v[4:5], -v[17:18], v[4:5], v[8:9]
	v_lshl_add_u32 v26, v56, 4, v105
	ds_write2_b64 v25, v[10:11], v[19:20] offset1:1
	ds_write_b128 v12, v[4:7] offset:12672
	ds_read_b128 v[4:7], v26
	ds_read_b128 v[8:11], v12 offset:11264
	v_mov_b32_e32 v25, s7
	s_waitcnt lgkmcnt(0)
	v_add_f64 v[17:18], v[4:5], -v[8:9]
	v_add_f64 v[19:20], v[6:7], v[10:11]
	v_add_f64 v[6:7], v[6:7], -v[10:11]
	v_add_f64 v[4:5], v[4:5], v[8:9]
	v_mul_f64 v[10:11], v[17:18], 0.5
	v_mul_f64 v[17:18], v[19:20], 0.5
	;; [unrolled: 1-line block ×3, first 2 shown]
	v_lshlrev_b64 v[19:20], 4, v[52:53]
	s_waitcnt vmcnt(1)
	v_mul_f64 v[8:9], v[10:11], v[15:16]
	v_fma_f64 v[21:22], v[17:18], v[15:16], v[6:7]
	v_fma_f64 v[15:16], v[17:18], v[15:16], -v[6:7]
	v_fma_f64 v[23:24], v[4:5], 0.5, v[8:9]
	v_fma_f64 v[8:9], v[4:5], 0.5, -v[8:9]
	v_add_co_u32_e32 v4, vcc, s6, v19
	v_addc_co_u32_e32 v5, vcc, v25, v20, vcc
	global_load_dwordx4 v[4:7], v[4:5], off
	v_fma_f64 v[19:20], -v[13:14], v[10:11], v[21:22]
	v_fma_f64 v[10:11], -v[13:14], v[10:11], v[15:16]
	v_fma_f64 v[15:16], v[17:18], v[13:14], v[23:24]
	v_fma_f64 v[8:9], -v[17:18], v[13:14], v[8:9]
	v_lshl_add_u32 v21, v54, 4, v105
	ds_write2_b64 v26, v[15:16], v[19:20] offset1:1
	ds_write_b128 v12, v[8:11] offset:11264
	ds_read_b128 v[8:11], v21
	ds_read_b128 v[13:16], v12 offset:9856
	s_waitcnt lgkmcnt(0)
	v_add_f64 v[17:18], v[8:9], -v[13:14]
	v_add_f64 v[19:20], v[10:11], v[15:16]
	v_add_f64 v[10:11], v[10:11], -v[15:16]
	v_add_f64 v[8:9], v[8:9], v[13:14]
	v_mul_f64 v[15:16], v[17:18], 0.5
	v_mul_f64 v[17:18], v[19:20], 0.5
	;; [unrolled: 1-line block ×3, first 2 shown]
	s_waitcnt vmcnt(1)
	v_mul_f64 v[13:14], v[15:16], v[2:3]
	v_fma_f64 v[19:20], v[17:18], v[2:3], v[10:11]
	v_fma_f64 v[2:3], v[17:18], v[2:3], -v[10:11]
	v_fma_f64 v[10:11], v[8:9], 0.5, v[13:14]
	v_fma_f64 v[8:9], v[8:9], 0.5, -v[13:14]
	v_fma_f64 v[13:14], -v[0:1], v[15:16], v[19:20]
	v_fma_f64 v[2:3], -v[0:1], v[15:16], v[2:3]
	v_fma_f64 v[10:11], v[17:18], v[0:1], v[10:11]
	v_fma_f64 v[0:1], -v[17:18], v[0:1], v[8:9]
	v_lshl_add_u32 v17, v52, 4, v105
	ds_write2_b64 v21, v[10:11], v[13:14] offset1:1
	ds_write_b128 v12, v[0:3] offset:9856
	ds_read_b128 v[0:3], v17
	ds_read_b128 v[8:11], v12 offset:8448
	s_waitcnt lgkmcnt(0)
	v_add_f64 v[13:14], v[0:1], -v[8:9]
	v_add_f64 v[15:16], v[2:3], v[10:11]
	v_add_f64 v[2:3], v[2:3], -v[10:11]
	v_add_f64 v[0:1], v[0:1], v[8:9]
	v_mul_f64 v[10:11], v[13:14], 0.5
	v_mul_f64 v[13:14], v[15:16], 0.5
	;; [unrolled: 1-line block ×3, first 2 shown]
	s_waitcnt vmcnt(0)
	v_mul_f64 v[8:9], v[10:11], v[6:7]
	v_fma_f64 v[15:16], v[13:14], v[6:7], v[2:3]
	v_fma_f64 v[2:3], v[13:14], v[6:7], -v[2:3]
	v_fma_f64 v[6:7], v[0:1], 0.5, v[8:9]
	v_fma_f64 v[0:1], v[0:1], 0.5, -v[8:9]
	v_fma_f64 v[8:9], -v[4:5], v[10:11], v[15:16]
	v_fma_f64 v[2:3], -v[4:5], v[10:11], v[2:3]
	v_fma_f64 v[6:7], v[13:14], v[4:5], v[6:7]
	v_fma_f64 v[0:1], -v[13:14], v[4:5], v[0:1]
	ds_write2_b64 v17, v[6:7], v[8:9] offset1:1
	ds_write_b128 v12, v[0:3] offset:8448
	s_waitcnt lgkmcnt(0)
	s_barrier
	s_and_saveexec_b64 s[4:5], s[0:1]
	s_cbranch_execz .LBB0_24
; %bb.22:
	v_mul_lo_u32 v0, s3, v46
	v_mul_lo_u32 v3, s2, v47
	v_mad_u64_u32 v[1:2], s[0:1], s2, v46, 0
	v_mov_b32_e32 v7, s11
	v_mov_b32_e32 v49, v51
	v_add3_u32 v2, v2, v3, v0
	v_lshlrev_b64 v[1:2], 4, v[1:2]
	v_lshl_add_u32 v0, v48, 4, v105
	v_add_co_u32_e32 v1, vcc, s10, v1
	v_addc_co_u32_e32 v9, vcc, v7, v2, vcc
	v_lshlrev_b64 v[7:8], 4, v[44:45]
	ds_read_b128 v[3:6], v0
	v_add_co_u32_e32 v2, vcc, v1, v7
	v_addc_co_u32_e32 v1, vcc, v9, v8, vcc
	v_lshlrev_b64 v[7:8], 4, v[48:49]
	v_add_u32_e32 v50, 0x58, v48
	v_add_co_u32_e32 v11, vcc, v2, v7
	v_addc_co_u32_e32 v12, vcc, v1, v8, vcc
	ds_read_b128 v[7:10], v0 offset:1408
	s_waitcnt lgkmcnt(1)
	global_store_dwordx4 v[11:12], v[3:6], off
	s_movk_i32 s0, 0x57
	v_lshlrev_b64 v[3:4], 4, v[50:51]
	v_add_u32_e32 v50, 0xb0, v48
	v_add_co_u32_e32 v3, vcc, v2, v3
	v_addc_co_u32_e32 v4, vcc, v1, v4, vcc
	s_waitcnt lgkmcnt(0)
	global_store_dwordx4 v[3:4], v[7:10], off
	ds_read_b128 v[3:6], v0 offset:2816
	v_lshlrev_b64 v[7:8], 4, v[50:51]
	v_add_u32_e32 v50, 0x108, v48
	v_add_co_u32_e32 v11, vcc, v2, v7
	v_addc_co_u32_e32 v12, vcc, v1, v8, vcc
	ds_read_b128 v[7:10], v0 offset:4224
	s_waitcnt lgkmcnt(1)
	global_store_dwordx4 v[11:12], v[3:6], off
	s_nop 0
	v_lshlrev_b64 v[3:4], 4, v[50:51]
	v_add_u32_e32 v50, 0x160, v48
	v_add_co_u32_e32 v3, vcc, v2, v3
	v_addc_co_u32_e32 v4, vcc, v1, v4, vcc
	s_waitcnt lgkmcnt(0)
	global_store_dwordx4 v[3:4], v[7:10], off
	ds_read_b128 v[3:6], v0 offset:5632
	v_lshlrev_b64 v[7:8], 4, v[50:51]
	v_add_u32_e32 v50, 0x1b8, v48
	v_add_co_u32_e32 v11, vcc, v2, v7
	v_addc_co_u32_e32 v12, vcc, v1, v8, vcc
	ds_read_b128 v[7:10], v0 offset:7040
	s_waitcnt lgkmcnt(1)
	global_store_dwordx4 v[11:12], v[3:6], off
	s_nop 0
	;; [unrolled: 15-line block ×4, first 2 shown]
	v_lshlrev_b64 v[3:4], 4, v[50:51]
	v_add_co_u32_e32 v3, vcc, v2, v3
	v_addc_co_u32_e32 v4, vcc, v1, v4, vcc
	v_cmp_eq_u32_e32 vcc, s0, v48
	s_waitcnt lgkmcnt(0)
	global_store_dwordx4 v[3:4], v[7:10], off
	s_and_b64 exec, exec, vcc
	s_cbranch_execz .LBB0_24
; %bb.23:
	ds_read_b128 v[3:6], v0 offset:12688
	v_add_co_u32_e32 v0, vcc, 0x3000, v2
	v_addc_co_u32_e32 v1, vcc, 0, v1, vcc
	s_waitcnt lgkmcnt(0)
	global_store_dwordx4 v[0:1], v[3:6], off offset:1792
.LBB0_24:
	s_endpgm
	.section	.rodata,"a",@progbits
	.p2align	6, 0x0
	.amdhsa_kernel fft_rtc_fwd_len880_factors_2_2_2_2_11_5_wgs_176_tpt_88_halfLds_dp_op_CI_CI_unitstride_sbrr_R2C_dirReg
		.amdhsa_group_segment_fixed_size 0
		.amdhsa_private_segment_fixed_size 0
		.amdhsa_kernarg_size 104
		.amdhsa_user_sgpr_count 6
		.amdhsa_user_sgpr_private_segment_buffer 1
		.amdhsa_user_sgpr_dispatch_ptr 0
		.amdhsa_user_sgpr_queue_ptr 0
		.amdhsa_user_sgpr_kernarg_segment_ptr 1
		.amdhsa_user_sgpr_dispatch_id 0
		.amdhsa_user_sgpr_flat_scratch_init 0
		.amdhsa_user_sgpr_private_segment_size 0
		.amdhsa_uses_dynamic_stack 0
		.amdhsa_system_sgpr_private_segment_wavefront_offset 0
		.amdhsa_system_sgpr_workgroup_id_x 1
		.amdhsa_system_sgpr_workgroup_id_y 0
		.amdhsa_system_sgpr_workgroup_id_z 0
		.amdhsa_system_sgpr_workgroup_info 0
		.amdhsa_system_vgpr_workitem_id 0
		.amdhsa_next_free_vgpr 165
		.amdhsa_next_free_sgpr 42
		.amdhsa_reserve_vcc 1
		.amdhsa_reserve_flat_scratch 0
		.amdhsa_float_round_mode_32 0
		.amdhsa_float_round_mode_16_64 0
		.amdhsa_float_denorm_mode_32 3
		.amdhsa_float_denorm_mode_16_64 3
		.amdhsa_dx10_clamp 1
		.amdhsa_ieee_mode 1
		.amdhsa_fp16_overflow 0
		.amdhsa_exception_fp_ieee_invalid_op 0
		.amdhsa_exception_fp_denorm_src 0
		.amdhsa_exception_fp_ieee_div_zero 0
		.amdhsa_exception_fp_ieee_overflow 0
		.amdhsa_exception_fp_ieee_underflow 0
		.amdhsa_exception_fp_ieee_inexact 0
		.amdhsa_exception_int_div_zero 0
	.end_amdhsa_kernel
	.text
.Lfunc_end0:
	.size	fft_rtc_fwd_len880_factors_2_2_2_2_11_5_wgs_176_tpt_88_halfLds_dp_op_CI_CI_unitstride_sbrr_R2C_dirReg, .Lfunc_end0-fft_rtc_fwd_len880_factors_2_2_2_2_11_5_wgs_176_tpt_88_halfLds_dp_op_CI_CI_unitstride_sbrr_R2C_dirReg
                                        ; -- End function
	.section	.AMDGPU.csdata,"",@progbits
; Kernel info:
; codeLenInByte = 10408
; NumSgprs: 46
; NumVgprs: 165
; ScratchSize: 0
; MemoryBound: 0
; FloatMode: 240
; IeeeMode: 1
; LDSByteSize: 0 bytes/workgroup (compile time only)
; SGPRBlocks: 5
; VGPRBlocks: 41
; NumSGPRsForWavesPerEU: 46
; NumVGPRsForWavesPerEU: 165
; Occupancy: 1
; WaveLimiterHint : 1
; COMPUTE_PGM_RSRC2:SCRATCH_EN: 0
; COMPUTE_PGM_RSRC2:USER_SGPR: 6
; COMPUTE_PGM_RSRC2:TRAP_HANDLER: 0
; COMPUTE_PGM_RSRC2:TGID_X_EN: 1
; COMPUTE_PGM_RSRC2:TGID_Y_EN: 0
; COMPUTE_PGM_RSRC2:TGID_Z_EN: 0
; COMPUTE_PGM_RSRC2:TIDIG_COMP_CNT: 0
	.type	__hip_cuid_e5c2c19faf529b55,@object ; @__hip_cuid_e5c2c19faf529b55
	.section	.bss,"aw",@nobits
	.globl	__hip_cuid_e5c2c19faf529b55
__hip_cuid_e5c2c19faf529b55:
	.byte	0                               ; 0x0
	.size	__hip_cuid_e5c2c19faf529b55, 1

	.ident	"AMD clang version 19.0.0git (https://github.com/RadeonOpenCompute/llvm-project roc-6.4.0 25133 c7fe45cf4b819c5991fe208aaa96edf142730f1d)"
	.section	".note.GNU-stack","",@progbits
	.addrsig
	.addrsig_sym __hip_cuid_e5c2c19faf529b55
	.amdgpu_metadata
---
amdhsa.kernels:
  - .args:
      - .actual_access:  read_only
        .address_space:  global
        .offset:         0
        .size:           8
        .value_kind:     global_buffer
      - .offset:         8
        .size:           8
        .value_kind:     by_value
      - .actual_access:  read_only
        .address_space:  global
        .offset:         16
        .size:           8
        .value_kind:     global_buffer
      - .actual_access:  read_only
        .address_space:  global
        .offset:         24
        .size:           8
        .value_kind:     global_buffer
      - .actual_access:  read_only
        .address_space:  global
        .offset:         32
        .size:           8
        .value_kind:     global_buffer
      - .offset:         40
        .size:           8
        .value_kind:     by_value
      - .actual_access:  read_only
        .address_space:  global
        .offset:         48
        .size:           8
        .value_kind:     global_buffer
      - .actual_access:  read_only
        .address_space:  global
        .offset:         56
        .size:           8
        .value_kind:     global_buffer
      - .offset:         64
        .size:           4
        .value_kind:     by_value
      - .actual_access:  read_only
        .address_space:  global
        .offset:         72
        .size:           8
        .value_kind:     global_buffer
      - .actual_access:  read_only
        .address_space:  global
        .offset:         80
        .size:           8
        .value_kind:     global_buffer
      - .actual_access:  read_only
        .address_space:  global
        .offset:         88
        .size:           8
        .value_kind:     global_buffer
      - .actual_access:  write_only
        .address_space:  global
        .offset:         96
        .size:           8
        .value_kind:     global_buffer
    .group_segment_fixed_size: 0
    .kernarg_segment_align: 8
    .kernarg_segment_size: 104
    .language:       OpenCL C
    .language_version:
      - 2
      - 0
    .max_flat_workgroup_size: 176
    .name:           fft_rtc_fwd_len880_factors_2_2_2_2_11_5_wgs_176_tpt_88_halfLds_dp_op_CI_CI_unitstride_sbrr_R2C_dirReg
    .private_segment_fixed_size: 0
    .sgpr_count:     46
    .sgpr_spill_count: 0
    .symbol:         fft_rtc_fwd_len880_factors_2_2_2_2_11_5_wgs_176_tpt_88_halfLds_dp_op_CI_CI_unitstride_sbrr_R2C_dirReg.kd
    .uniform_work_group_size: 1
    .uses_dynamic_stack: false
    .vgpr_count:     165
    .vgpr_spill_count: 0
    .wavefront_size: 64
amdhsa.target:   amdgcn-amd-amdhsa--gfx906
amdhsa.version:
  - 1
  - 2
...

	.end_amdgpu_metadata
